;; amdgpu-corpus repo=ROCm/rocFFT kind=compiled arch=gfx906 opt=O3
	.text
	.amdgcn_target "amdgcn-amd-amdhsa--gfx906"
	.amdhsa_code_object_version 6
	.protected	fft_rtc_back_len702_factors_13_3_6_3_wgs_117_tpt_117_halfLds_sp_op_CI_CI_unitstride_sbrr_dirReg ; -- Begin function fft_rtc_back_len702_factors_13_3_6_3_wgs_117_tpt_117_halfLds_sp_op_CI_CI_unitstride_sbrr_dirReg
	.globl	fft_rtc_back_len702_factors_13_3_6_3_wgs_117_tpt_117_halfLds_sp_op_CI_CI_unitstride_sbrr_dirReg
	.p2align	8
	.type	fft_rtc_back_len702_factors_13_3_6_3_wgs_117_tpt_117_halfLds_sp_op_CI_CI_unitstride_sbrr_dirReg,@function
fft_rtc_back_len702_factors_13_3_6_3_wgs_117_tpt_117_halfLds_sp_op_CI_CI_unitstride_sbrr_dirReg: ; @fft_rtc_back_len702_factors_13_3_6_3_wgs_117_tpt_117_halfLds_sp_op_CI_CI_unitstride_sbrr_dirReg
; %bb.0:
	s_load_dwordx4 s[8:11], s[4:5], 0x58
	s_load_dwordx4 s[12:15], s[4:5], 0x0
	;; [unrolled: 1-line block ×3, first 2 shown]
	v_mul_u32_u24_e32 v1, 0x231, v0
	v_mov_b32_e32 v5, 0
	v_mov_b32_e32 v32, 0
	s_waitcnt lgkmcnt(0)
	v_cmp_lt_u64_e64 s[0:1], s[14:15], 2
	v_add_u32_sdwa v7, s6, v1 dst_sel:DWORD dst_unused:UNUSED_PAD src0_sel:DWORD src1_sel:WORD_1
	v_mov_b32_e32 v8, v5
	s_and_b64 vcc, exec, s[0:1]
	v_mov_b32_e32 v33, 0
	s_cbranch_vccnz .LBB0_8
; %bb.1:
	s_load_dwordx2 s[0:1], s[4:5], 0x10
	s_add_u32 s2, s18, 8
	s_addc_u32 s3, s19, 0
	s_add_u32 s6, s16, 8
	s_addc_u32 s7, s17, 0
	v_mov_b32_e32 v32, 0
	s_waitcnt lgkmcnt(0)
	s_add_u32 s20, s0, 8
	v_mov_b32_e32 v33, 0
	v_mov_b32_e32 v1, v32
	s_addc_u32 s21, s1, 0
	s_mov_b64 s[22:23], 1
	v_mov_b32_e32 v2, v33
.LBB0_2:                                ; =>This Inner Loop Header: Depth=1
	s_load_dwordx2 s[24:25], s[20:21], 0x0
                                        ; implicit-def: $vgpr3_vgpr4
	s_waitcnt lgkmcnt(0)
	v_or_b32_e32 v6, s25, v8
	v_cmp_ne_u64_e32 vcc, 0, v[5:6]
	s_and_saveexec_b64 s[0:1], vcc
	s_xor_b64 s[26:27], exec, s[0:1]
	s_cbranch_execz .LBB0_4
; %bb.3:                                ;   in Loop: Header=BB0_2 Depth=1
	v_cvt_f32_u32_e32 v3, s24
	v_cvt_f32_u32_e32 v4, s25
	s_sub_u32 s0, 0, s24
	s_subb_u32 s1, 0, s25
	v_mac_f32_e32 v3, 0x4f800000, v4
	v_rcp_f32_e32 v3, v3
	v_mul_f32_e32 v3, 0x5f7ffffc, v3
	v_mul_f32_e32 v4, 0x2f800000, v3
	v_trunc_f32_e32 v4, v4
	v_mac_f32_e32 v3, 0xcf800000, v4
	v_cvt_u32_f32_e32 v4, v4
	v_cvt_u32_f32_e32 v3, v3
	v_mul_lo_u32 v6, s0, v4
	v_mul_hi_u32 v9, s0, v3
	v_mul_lo_u32 v11, s1, v3
	v_mul_lo_u32 v10, s0, v3
	v_add_u32_e32 v6, v9, v6
	v_add_u32_e32 v6, v6, v11
	v_mul_hi_u32 v9, v3, v10
	v_mul_lo_u32 v11, v3, v6
	v_mul_hi_u32 v13, v3, v6
	v_mul_hi_u32 v12, v4, v10
	v_mul_lo_u32 v10, v4, v10
	v_mul_hi_u32 v14, v4, v6
	v_add_co_u32_e32 v9, vcc, v9, v11
	v_addc_co_u32_e32 v11, vcc, 0, v13, vcc
	v_mul_lo_u32 v6, v4, v6
	v_add_co_u32_e32 v9, vcc, v9, v10
	v_addc_co_u32_e32 v9, vcc, v11, v12, vcc
	v_addc_co_u32_e32 v10, vcc, 0, v14, vcc
	v_add_co_u32_e32 v6, vcc, v9, v6
	v_addc_co_u32_e32 v9, vcc, 0, v10, vcc
	v_add_co_u32_e32 v3, vcc, v3, v6
	v_addc_co_u32_e32 v4, vcc, v4, v9, vcc
	v_mul_lo_u32 v6, s0, v4
	v_mul_hi_u32 v9, s0, v3
	v_mul_lo_u32 v10, s1, v3
	v_mul_lo_u32 v11, s0, v3
	v_add_u32_e32 v6, v9, v6
	v_add_u32_e32 v6, v6, v10
	v_mul_lo_u32 v12, v3, v6
	v_mul_hi_u32 v13, v3, v11
	v_mul_hi_u32 v14, v3, v6
	v_mul_hi_u32 v10, v4, v11
	v_mul_lo_u32 v11, v4, v11
	v_mul_hi_u32 v9, v4, v6
	v_add_co_u32_e32 v12, vcc, v13, v12
	v_addc_co_u32_e32 v13, vcc, 0, v14, vcc
	v_mul_lo_u32 v6, v4, v6
	v_add_co_u32_e32 v11, vcc, v12, v11
	v_addc_co_u32_e32 v10, vcc, v13, v10, vcc
	v_addc_co_u32_e32 v9, vcc, 0, v9, vcc
	v_add_co_u32_e32 v6, vcc, v10, v6
	v_addc_co_u32_e32 v9, vcc, 0, v9, vcc
	v_add_co_u32_e32 v6, vcc, v3, v6
	v_addc_co_u32_e32 v9, vcc, v4, v9, vcc
	v_mad_u64_u32 v[3:4], s[0:1], v7, v9, 0
	v_mul_hi_u32 v10, v7, v6
	v_add_co_u32_e32 v11, vcc, v10, v3
	v_addc_co_u32_e32 v12, vcc, 0, v4, vcc
	v_mad_u64_u32 v[3:4], s[0:1], v8, v6, 0
	v_mad_u64_u32 v[9:10], s[0:1], v8, v9, 0
	v_add_co_u32_e32 v3, vcc, v11, v3
	v_addc_co_u32_e32 v3, vcc, v12, v4, vcc
	v_addc_co_u32_e32 v4, vcc, 0, v10, vcc
	v_add_co_u32_e32 v6, vcc, v3, v9
	v_addc_co_u32_e32 v9, vcc, 0, v4, vcc
	v_mul_lo_u32 v10, s25, v6
	v_mul_lo_u32 v11, s24, v9
	v_mad_u64_u32 v[3:4], s[0:1], s24, v6, 0
	v_add3_u32 v4, v4, v11, v10
	v_sub_u32_e32 v10, v8, v4
	v_mov_b32_e32 v11, s25
	v_sub_co_u32_e32 v3, vcc, v7, v3
	v_subb_co_u32_e64 v10, s[0:1], v10, v11, vcc
	v_subrev_co_u32_e64 v11, s[0:1], s24, v3
	v_subbrev_co_u32_e64 v10, s[0:1], 0, v10, s[0:1]
	v_cmp_le_u32_e64 s[0:1], s25, v10
	v_cndmask_b32_e64 v12, 0, -1, s[0:1]
	v_cmp_le_u32_e64 s[0:1], s24, v11
	v_cndmask_b32_e64 v11, 0, -1, s[0:1]
	v_cmp_eq_u32_e64 s[0:1], s25, v10
	v_cndmask_b32_e64 v10, v12, v11, s[0:1]
	v_add_co_u32_e64 v11, s[0:1], 2, v6
	v_addc_co_u32_e64 v12, s[0:1], 0, v9, s[0:1]
	v_add_co_u32_e64 v13, s[0:1], 1, v6
	v_addc_co_u32_e64 v14, s[0:1], 0, v9, s[0:1]
	v_subb_co_u32_e32 v4, vcc, v8, v4, vcc
	v_cmp_ne_u32_e64 s[0:1], 0, v10
	v_cmp_le_u32_e32 vcc, s25, v4
	v_cndmask_b32_e64 v10, v14, v12, s[0:1]
	v_cndmask_b32_e64 v12, 0, -1, vcc
	v_cmp_le_u32_e32 vcc, s24, v3
	v_cndmask_b32_e64 v3, 0, -1, vcc
	v_cmp_eq_u32_e32 vcc, s25, v4
	v_cndmask_b32_e32 v3, v12, v3, vcc
	v_cmp_ne_u32_e32 vcc, 0, v3
	v_cndmask_b32_e64 v3, v13, v11, s[0:1]
	v_cndmask_b32_e32 v4, v9, v10, vcc
	v_cndmask_b32_e32 v3, v6, v3, vcc
.LBB0_4:                                ;   in Loop: Header=BB0_2 Depth=1
	s_andn2_saveexec_b64 s[0:1], s[26:27]
	s_cbranch_execz .LBB0_6
; %bb.5:                                ;   in Loop: Header=BB0_2 Depth=1
	v_cvt_f32_u32_e32 v3, s24
	s_sub_i32 s26, 0, s24
	v_rcp_iflag_f32_e32 v3, v3
	v_mul_f32_e32 v3, 0x4f7ffffe, v3
	v_cvt_u32_f32_e32 v3, v3
	v_mul_lo_u32 v4, s26, v3
	v_mul_hi_u32 v4, v3, v4
	v_add_u32_e32 v3, v3, v4
	v_mul_hi_u32 v3, v7, v3
	v_mul_lo_u32 v4, v3, s24
	v_add_u32_e32 v6, 1, v3
	v_sub_u32_e32 v4, v7, v4
	v_subrev_u32_e32 v9, s24, v4
	v_cmp_le_u32_e32 vcc, s24, v4
	v_cndmask_b32_e32 v4, v4, v9, vcc
	v_cndmask_b32_e32 v3, v3, v6, vcc
	v_add_u32_e32 v6, 1, v3
	v_cmp_le_u32_e32 vcc, s24, v4
	v_cndmask_b32_e32 v3, v3, v6, vcc
	v_mov_b32_e32 v4, v5
.LBB0_6:                                ;   in Loop: Header=BB0_2 Depth=1
	s_or_b64 exec, exec, s[0:1]
	v_mul_lo_u32 v6, v4, s24
	v_mul_lo_u32 v11, v3, s25
	v_mad_u64_u32 v[9:10], s[0:1], v3, s24, 0
	s_load_dwordx2 s[0:1], s[6:7], 0x0
	s_load_dwordx2 s[24:25], s[2:3], 0x0
	v_add3_u32 v6, v10, v11, v6
	v_sub_co_u32_e32 v7, vcc, v7, v9
	v_subb_co_u32_e32 v6, vcc, v8, v6, vcc
	s_waitcnt lgkmcnt(0)
	v_mul_lo_u32 v8, s0, v6
	v_mul_lo_u32 v9, s1, v7
	v_mad_u64_u32 v[32:33], s[0:1], s0, v7, v[32:33]
	v_mul_lo_u32 v6, s24, v6
	v_mul_lo_u32 v10, s25, v7
	v_mad_u64_u32 v[1:2], s[0:1], s24, v7, v[1:2]
	s_add_u32 s22, s22, 1
	s_addc_u32 s23, s23, 0
	s_add_u32 s2, s2, 8
	v_add3_u32 v2, v10, v2, v6
	s_addc_u32 s3, s3, 0
	v_mov_b32_e32 v6, s14
	s_add_u32 s6, s6, 8
	v_mov_b32_e32 v7, s15
	s_addc_u32 s7, s7, 0
	v_cmp_ge_u64_e32 vcc, s[22:23], v[6:7]
	s_add_u32 s20, s20, 8
	v_add3_u32 v33, v9, v33, v8
	s_addc_u32 s21, s21, 0
	s_cbranch_vccnz .LBB0_9
; %bb.7:                                ;   in Loop: Header=BB0_2 Depth=1
	v_mov_b32_e32 v8, v4
	v_mov_b32_e32 v7, v3
	s_branch .LBB0_2
.LBB0_8:
	v_mov_b32_e32 v1, v32
	v_mov_b32_e32 v3, v7
	;; [unrolled: 1-line block ×4, first 2 shown]
.LBB0_9:
	s_mov_b32 s2, 0x2302303
	s_load_dwordx2 s[0:1], s[4:5], 0x28
	v_mul_hi_u32 v5, v0, s2
	s_lshl_b64 s[14:15], s[14:15], 3
	s_add_u32 s4, s18, s14
	s_addc_u32 s5, s19, s15
	v_mul_u32_u24_e32 v5, 0x75, v5
	s_waitcnt lgkmcnt(0)
	v_cmp_gt_u64_e64 s[0:1], s[0:1], v[3:4]
	v_sub_u32_e32 v5, v0, v5
	v_cmp_gt_u32_e64 s[2:3], 54, v5
	s_and_b64 s[18:19], s[0:1], s[2:3]
	v_mov_b32_e32 v21, 0
	v_mov_b32_e32 v20, 0
                                        ; implicit-def: $vgpr27
                                        ; implicit-def: $vgpr23
                                        ; implicit-def: $vgpr17
                                        ; implicit-def: $vgpr15
                                        ; implicit-def: $vgpr11
                                        ; implicit-def: $vgpr7
                                        ; implicit-def: $vgpr31
                                        ; implicit-def: $vgpr29
                                        ; implicit-def: $vgpr25
                                        ; implicit-def: $vgpr19
                                        ; implicit-def: $vgpr13
                                        ; implicit-def: $vgpr9
	s_and_saveexec_b64 s[6:7], s[18:19]
	s_cbranch_execz .LBB0_11
; %bb.10:
	s_add_u32 s14, s16, s14
	s_addc_u32 s15, s17, s15
	s_load_dwordx2 s[14:15], s[14:15], 0x0
	v_mov_b32_e32 v10, s9
	v_mov_b32_e32 v6, 0
	s_waitcnt lgkmcnt(0)
	v_mul_lo_u32 v0, s15, v3
	v_mul_lo_u32 v9, s14, v4
	v_mad_u64_u32 v[7:8], s[14:15], s14, v3, 0
	v_add3_u32 v8, v8, v9, v0
	v_lshlrev_b64 v[7:8], 3, v[7:8]
	v_add_co_u32_e32 v0, vcc, s8, v7
	v_addc_co_u32_e32 v9, vcc, v10, v8, vcc
	v_lshlrev_b64 v[7:8], 3, v[32:33]
	v_add_co_u32_e32 v0, vcc, v0, v7
	v_lshlrev_b64 v[6:7], 3, v[5:6]
	v_addc_co_u32_e32 v8, vcc, v9, v8, vcc
	v_add_co_u32_e32 v32, vcc, v0, v6
	v_addc_co_u32_e32 v33, vcc, v8, v7, vcc
	global_load_dwordx2 v[20:21], v[32:33], off
	global_load_dwordx2 v[26:27], v[32:33], off offset:432
	global_load_dwordx2 v[22:23], v[32:33], off offset:864
	global_load_dwordx2 v[16:17], v[32:33], off offset:1296
	global_load_dwordx2 v[14:15], v[32:33], off offset:1728
	global_load_dwordx2 v[10:11], v[32:33], off offset:2160
	global_load_dwordx2 v[6:7], v[32:33], off offset:2592
	global_load_dwordx2 v[8:9], v[32:33], off offset:3024
	v_add_co_u32_e32 v34, vcc, 0x1000, v32
	v_addc_co_u32_e32 v35, vcc, 0, v33, vcc
	global_load_dwordx2 v[12:13], v[32:33], off offset:3456
	global_load_dwordx2 v[18:19], v[32:33], off offset:3888
	;; [unrolled: 1-line block ×5, first 2 shown]
.LBB0_11:
	s_or_b64 exec, exec, s[6:7]
	s_and_saveexec_b64 s[6:7], s[2:3]
	s_cbranch_execz .LBB0_13
; %bb.12:
	s_waitcnt vmcnt(0)
	v_add_f32_e32 v47, v26, v30
	v_mul_f32_e32 v32, 0xbf788fa5, v47
	v_add_f32_e32 v48, v22, v28
	v_sub_f32_e32 v43, v27, v31
	v_mov_b32_e32 v0, v32
	v_mul_f32_e32 v33, 0x3f62ad3f, v48
	v_fmac_f32_e32 v0, 0x3e750f2a, v43
	v_sub_f32_e32 v45, v23, v29
	v_mov_b32_e32 v34, v33
	v_add_f32_e32 v0, v20, v0
	v_fmac_f32_e32 v34, 0xbeedf032, v45
	v_add_f32_e32 v49, v16, v24
	v_add_f32_e32 v0, v0, v34
	v_mul_f32_e32 v34, 0xbf3f9e67, v49
	v_sub_f32_e32 v44, v17, v25
	v_mov_b32_e32 v35, v34
	v_fmac_f32_e32 v35, 0x3f29c268, v44
	v_add_f32_e32 v50, v14, v18
	v_add_f32_e32 v0, v0, v35
	v_mul_f32_e32 v35, 0x3f116cb1, v50
	v_sub_f32_e32 v41, v15, v19
	v_mov_b32_e32 v36, v35
	v_fmac_f32_e32 v36, 0xbf52af12, v41
	v_add_f32_e32 v51, v10, v12
	v_fmac_f32_e32 v32, 0xbe750f2a, v43
	v_add_f32_e32 v0, v0, v36
	v_mul_f32_e32 v36, 0xbeb58ec6, v51
	v_add_f32_e32 v32, v20, v32
	v_fmac_f32_e32 v33, 0x3eedf032, v45
	v_sub_f32_e32 v40, v11, v13
	v_mov_b32_e32 v37, v36
	v_add_f32_e32 v32, v32, v33
	v_fmac_f32_e32 v34, 0xbf29c268, v44
	v_fmac_f32_e32 v37, 0x3f6f5d39, v40
	v_add_f32_e32 v52, v6, v8
	v_add_f32_e32 v32, v32, v34
	v_fmac_f32_e32 v35, 0x3f52af12, v41
	v_add_f32_e32 v0, v0, v37
	v_mul_f32_e32 v37, 0x3df6dbef, v52
	v_sub_f32_e32 v39, v7, v9
	v_add_f32_e32 v32, v32, v35
	v_fmac_f32_e32 v36, 0xbf6f5d39, v40
	v_mov_b32_e32 v38, v37
	v_add_f32_e32 v32, v32, v36
	v_fmac_f32_e32 v37, 0x3f7e222b, v39
	v_mul_f32_e32 v34, 0xbf3f9e67, v47
	v_add_f32_e32 v33, v32, v37
	v_mov_b32_e32 v32, v34
	v_mul_f32_e32 v35, 0x3df6dbef, v48
	v_fmac_f32_e32 v32, 0x3f29c268, v43
	v_mov_b32_e32 v36, v35
	v_add_f32_e32 v32, v20, v32
	v_fmac_f32_e32 v36, 0xbf7e222b, v45
	v_add_f32_e32 v32, v32, v36
	v_mul_f32_e32 v36, 0x3f116cb1, v49
	v_mov_b32_e32 v37, v36
	v_fmac_f32_e32 v37, 0x3f52af12, v44
	v_fmac_f32_e32 v38, 0xbf7e222b, v39
	v_add_f32_e32 v32, v32, v37
	v_mul_f32_e32 v37, 0xbf788fa5, v50
	v_add_f32_e32 v0, v0, v38
	v_mov_b32_e32 v38, v37
	v_fmac_f32_e32 v38, 0xbe750f2a, v41
	v_fmac_f32_e32 v34, 0xbf29c268, v43
	v_add_f32_e32 v32, v32, v38
	v_mul_f32_e32 v38, 0x3f62ad3f, v51
	v_add_f32_e32 v34, v20, v34
	v_fmac_f32_e32 v35, 0x3f7e222b, v45
	v_mov_b32_e32 v42, v38
	v_add_f32_e32 v34, v34, v35
	v_fmac_f32_e32 v36, 0xbf52af12, v44
	v_fmac_f32_e32 v42, 0xbeedf032, v40
	v_add_f32_e32 v34, v34, v36
	v_fmac_f32_e32 v37, 0x3e750f2a, v41
	v_add_f32_e32 v32, v32, v42
	v_mul_f32_e32 v42, 0xbeb58ec6, v52
	v_add_f32_e32 v34, v34, v37
	v_fmac_f32_e32 v38, 0x3eedf032, v40
	v_mov_b32_e32 v46, v42
	v_add_f32_e32 v34, v34, v38
	v_fmac_f32_e32 v42, 0xbf6f5d39, v39
	v_add_f32_e32 v37, v34, v42
	v_mul_f32_e32 v34, 0xbeb58ec6, v47
	v_mov_b32_e32 v35, v34
	v_mul_f32_e32 v36, 0xbf3f9e67, v48
	v_fmac_f32_e32 v35, 0x3f6f5d39, v43
	v_mov_b32_e32 v38, v36
	v_add_f32_e32 v35, v20, v35
	v_fmac_f32_e32 v38, 0xbf29c268, v45
	v_add_f32_e32 v35, v35, v38
	v_mul_f32_e32 v38, 0x3f62ad3f, v49
	v_mov_b32_e32 v42, v38
	v_fmac_f32_e32 v42, 0xbeedf032, v44
	v_fmac_f32_e32 v46, 0x3f6f5d39, v39
	v_add_f32_e32 v35, v35, v42
	v_mul_f32_e32 v42, 0x3df6dbef, v50
	v_add_f32_e32 v32, v32, v46
	v_mov_b32_e32 v46, v42
	v_fmac_f32_e32 v46, 0x3f7e222b, v41
	v_fmac_f32_e32 v34, 0xbf6f5d39, v43
	v_add_f32_e32 v35, v35, v46
	v_mul_f32_e32 v46, 0xbf788fa5, v51
	v_add_f32_e32 v34, v20, v34
	v_fmac_f32_e32 v36, 0x3f29c268, v45
	v_mov_b32_e32 v53, v46
	v_add_f32_e32 v34, v34, v36
	v_fmac_f32_e32 v38, 0x3eedf032, v44
	v_fmac_f32_e32 v53, 0xbe750f2a, v40
	v_add_f32_e32 v34, v34, v38
	v_fmac_f32_e32 v42, 0xbf7e222b, v41
	v_add_f32_e32 v35, v35, v53
	v_mul_f32_e32 v53, 0x3f116cb1, v52
	v_add_f32_e32 v34, v34, v42
	v_fmac_f32_e32 v46, 0x3e750f2a, v40
	v_mov_b32_e32 v54, v53
	v_add_f32_e32 v34, v34, v46
	v_fmac_f32_e32 v53, 0x3f52af12, v39
	v_mul_f32_e32 v36, 0x3df6dbef, v47
	v_add_f32_e32 v38, v34, v53
	v_mov_b32_e32 v34, v36
	v_mul_f32_e32 v42, 0xbf788fa5, v48
	v_fmac_f32_e32 v34, 0x3f7e222b, v43
	v_mov_b32_e32 v46, v42
	v_add_f32_e32 v34, v20, v34
	v_fmac_f32_e32 v46, 0x3e750f2a, v45
	v_add_f32_e32 v34, v34, v46
	v_mul_f32_e32 v46, 0xbeb58ec6, v49
	v_mov_b32_e32 v53, v46
	v_fmac_f32_e32 v53, 0xbf6f5d39, v44
	v_fmac_f32_e32 v54, 0xbf52af12, v39
	v_add_f32_e32 v34, v34, v53
	v_mul_f32_e32 v53, 0x3f62ad3f, v50
	v_add_f32_e32 v35, v35, v54
	v_mov_b32_e32 v54, v53
	v_fmac_f32_e32 v54, 0xbeedf032, v41
	v_fmac_f32_e32 v36, 0xbf7e222b, v43
	v_add_f32_e32 v34, v34, v54
	v_mul_f32_e32 v54, 0x3f116cb1, v51
	v_add_f32_e32 v36, v20, v36
	v_fmac_f32_e32 v42, 0xbe750f2a, v45
	v_mov_b32_e32 v55, v54
	v_add_f32_e32 v36, v36, v42
	v_fmac_f32_e32 v46, 0x3f6f5d39, v44
	v_fmac_f32_e32 v55, 0x3f52af12, v40
	v_add_f32_e32 v36, v36, v46
	v_fmac_f32_e32 v53, 0x3eedf032, v41
	v_add_f32_e32 v34, v34, v55
	v_mul_f32_e32 v55, 0xbf3f9e67, v52
	v_add_f32_e32 v36, v36, v53
	v_fmac_f32_e32 v54, 0xbf52af12, v40
	v_mov_b32_e32 v56, v55
	v_add_f32_e32 v36, v36, v54
	v_fmac_f32_e32 v55, 0xbf29c268, v39
	v_mul_f32_e32 v46, 0x3f116cb1, v47
	v_add_f32_e32 v42, v36, v55
	v_mov_b32_e32 v36, v46
	v_mul_f32_e32 v53, 0xbeb58ec6, v48
	v_fmac_f32_e32 v46, 0xbf52af12, v43
	v_mov_b32_e32 v54, v53
	v_add_f32_e32 v46, v20, v46
	v_fmac_f32_e32 v53, 0xbf6f5d39, v45
	v_mul_f32_e32 v47, 0x3f62ad3f, v47
	v_fmac_f32_e32 v36, 0x3f52af12, v43
	v_add_f32_e32 v46, v46, v53
	v_mov_b32_e32 v53, v47
	v_add_f32_e32 v36, v20, v36
	v_fmac_f32_e32 v54, 0x3f6f5d39, v45
	v_fmac_f32_e32 v53, 0x3eedf032, v43
	;; [unrolled: 1-line block ×3, first 2 shown]
	v_add_f32_e32 v36, v36, v54
	v_mul_f32_e32 v54, 0xbf788fa5, v49
	v_add_f32_e32 v53, v20, v53
	v_add_f32_e32 v43, v20, v47
	;; [unrolled: 1-line block ×3, first 2 shown]
	v_mov_b32_e32 v55, v54
	v_fmac_f32_e32 v54, 0xbe750f2a, v44
	v_mul_f32_e32 v48, 0x3f116cb1, v48
	v_add_f32_e32 v20, v20, v22
	v_fmac_f32_e32 v55, 0x3e750f2a, v44
	v_add_f32_e32 v46, v46, v54
	v_mov_b32_e32 v54, v48
	v_add_f32_e32 v20, v20, v16
	v_fmac_f32_e32 v56, 0x3f29c268, v39
	v_add_f32_e32 v36, v36, v55
	v_mul_f32_e32 v55, 0xbf3f9e67, v50
	v_fmac_f32_e32 v54, 0x3f52af12, v45
	v_mul_f32_e32 v49, 0x3df6dbef, v49
	v_add_f32_e32 v20, v20, v14
	v_add_f32_e32 v34, v34, v56
	v_mov_b32_e32 v56, v55
	v_add_f32_e32 v53, v53, v54
	v_mov_b32_e32 v54, v49
	v_add_f32_e32 v20, v20, v10
	v_fmac_f32_e32 v56, 0xbf29c268, v41
	v_fmac_f32_e32 v54, 0x3f7e222b, v44
	v_mul_f32_e32 v50, 0xbeb58ec6, v50
	v_add_f32_e32 v20, v20, v6
	v_add_f32_e32 v36, v36, v56
	v_mul_f32_e32 v56, 0x3df6dbef, v51
	v_add_f32_e32 v53, v53, v54
	v_mov_b32_e32 v54, v50
	v_fmac_f32_e32 v48, 0xbf52af12, v45
	v_add_f32_e32 v20, v20, v8
	v_mov_b32_e32 v57, v56
	v_fmac_f32_e32 v54, 0x3f6f5d39, v41
	v_mul_f32_e32 v51, 0xbf3f9e67, v51
	v_add_f32_e32 v43, v43, v48
	v_fmac_f32_e32 v49, 0xbf7e222b, v44
	v_add_f32_e32 v20, v12, v20
	v_fmac_f32_e32 v57, 0xbf7e222b, v40
	v_add_f32_e32 v53, v53, v54
	v_mov_b32_e32 v54, v51
	v_add_f32_e32 v43, v43, v49
	v_fmac_f32_e32 v50, 0xbf6f5d39, v41
	v_add_f32_e32 v20, v18, v20
	v_add_f32_e32 v36, v36, v57
	v_mul_f32_e32 v57, 0x3f62ad3f, v52
	v_fmac_f32_e32 v55, 0x3f29c268, v41
	v_fmac_f32_e32 v54, 0x3f29c268, v40
	v_mul_f32_e32 v52, 0xbf788fa5, v52
	v_add_f32_e32 v41, v43, v50
	v_fmac_f32_e32 v51, 0xbf29c268, v40
	v_add_f32_e32 v20, v24, v20
	v_mov_b32_e32 v58, v57
	v_add_f32_e32 v46, v46, v55
	v_fmac_f32_e32 v56, 0x3f7e222b, v40
	v_add_f32_e32 v53, v53, v54
	v_mov_b32_e32 v54, v52
	v_add_f32_e32 v40, v41, v51
	v_fmac_f32_e32 v52, 0xbe750f2a, v39
	v_add_f32_e32 v20, v28, v20
	v_fmac_f32_e32 v58, 0xbeedf032, v39
	;; [unrolled: 2-line block ×3, first 2 shown]
	v_fmac_f32_e32 v54, 0x3e750f2a, v39
	v_add_f32_e32 v39, v40, v52
	v_add_f32_e32 v20, v30, v20
	v_mad_u32_u24 v40, v5, 52, 0
	v_add_f32_e32 v36, v36, v58
	v_add_f32_e32 v46, v46, v57
	;; [unrolled: 1-line block ×3, first 2 shown]
	ds_write2_b32 v40, v20, v39 offset1:1
	ds_write2_b32 v40, v46, v42 offset0:2 offset1:3
	ds_write2_b32 v40, v38, v37 offset0:4 offset1:5
	ds_write2_b32 v40, v33, v0 offset0:6 offset1:7
	ds_write2_b32 v40, v32, v35 offset0:8 offset1:9
	ds_write2_b32 v40, v34, v36 offset0:10 offset1:11
	ds_write_b32 v40, v53 offset:48
.LBB0_13:
	s_or_b64 exec, exec, s[6:7]
	v_lshl_add_u32 v0, v5, 2, 0
	s_waitcnt vmcnt(12)
	v_add_u32_e32 v20, 0x200, v0
	v_add_u32_e32 v38, 0x600, v0
	s_waitcnt vmcnt(0) lgkmcnt(0)
	s_barrier
	ds_read2_b32 v[32:33], v0 offset1:117
	ds_read2_b32 v[34:35], v20 offset0:106 offset1:223
	ds_read2_b32 v[36:37], v38 offset0:84 offset1:201
	s_waitcnt lgkmcnt(0)
	s_barrier
	s_and_saveexec_b64 s[6:7], s[2:3]
	s_cbranch_execz .LBB0_15
; %bb.14:
	v_add_f32_e32 v39, v21, v27
	v_add_f32_e32 v39, v39, v23
	;; [unrolled: 1-line block ×10, first 2 shown]
	v_sub_f32_e32 v26, v26, v30
	v_add_f32_e32 v39, v29, v39
	v_add_f32_e32 v27, v27, v31
	v_mul_f32_e32 v30, 0xbeedf032, v26
	s_mov_b32 s8, 0x3f62ad3f
	v_mul_f32_e32 v40, 0xbf52af12, v26
	s_mov_b32 s3, 0x3f116cb1
	;; [unrolled: 2-line block ×6, first 2 shown]
	v_add_f32_e32 v39, v31, v39
	v_fma_f32 v31, v27, s8, -v30
	v_fmac_f32_e32 v30, 0x3f62ad3f, v27
	v_fma_f32 v41, v27, s3, -v40
	v_fmac_f32_e32 v40, 0x3f116cb1, v27
	;; [unrolled: 2-line block ×6, first 2 shown]
	v_sub_f32_e32 v22, v22, v28
	v_add_f32_e32 v31, v21, v31
	v_add_f32_e32 v30, v21, v30
	;; [unrolled: 1-line block ×13, first 2 shown]
	v_mul_f32_e32 v26, 0xbf52af12, v22
	v_fma_f32 v27, v23, s3, -v26
	v_fmac_f32_e32 v26, 0x3f116cb1, v23
	v_mul_f32_e32 v28, 0xbf6f5d39, v22
	v_add_f32_e32 v26, v30, v26
	v_fma_f32 v29, v23, s9, -v28
	v_fmac_f32_e32 v28, 0xbeb58ec6, v23
	v_mul_f32_e32 v30, 0xbe750f2a, v22
	v_add_f32_e32 v27, v31, v27
	v_add_f32_e32 v28, v40, v28
	v_fma_f32 v31, v23, s15, -v30
	v_fmac_f32_e32 v30, 0xbf788fa5, v23
	v_mul_f32_e32 v40, 0x3f29c268, v22
	v_add_f32_e32 v29, v41, v29
	v_add_f32_e32 v30, v42, v30
	v_fma_f32 v41, v23, s14, -v40
	v_fmac_f32_e32 v40, 0xbf3f9e67, v23
	v_mul_f32_e32 v42, 0x3f7e222b, v22
	v_mul_f32_e32 v22, 0x3eedf032, v22
	v_add_f32_e32 v40, v44, v40
	v_fma_f32 v44, v23, s8, -v22
	v_fmac_f32_e32 v22, 0x3f62ad3f, v23
	v_sub_f32_e32 v16, v16, v24
	v_add_f32_e32 v21, v21, v22
	v_add_f32_e32 v17, v17, v25
	v_mul_f32_e32 v22, 0xbf7e222b, v16
	v_add_f32_e32 v31, v43, v31
	v_fma_f32 v43, v23, s2, -v42
	v_fmac_f32_e32 v42, 0x3df6dbef, v23
	v_fma_f32 v23, v17, s2, -v22
	v_fmac_f32_e32 v22, 0x3df6dbef, v17
	v_mul_f32_e32 v24, 0xbe750f2a, v16
	v_add_f32_e32 v22, v26, v22
	v_fma_f32 v25, v17, s15, -v24
	v_fmac_f32_e32 v24, 0xbf788fa5, v17
	v_mul_f32_e32 v26, 0x3f6f5d39, v16
	v_add_f32_e32 v23, v27, v23
	v_add_f32_e32 v24, v28, v24
	v_fma_f32 v27, v17, s9, -v26
	v_fmac_f32_e32 v26, 0xbeb58ec6, v17
	v_mul_f32_e32 v28, 0x3eedf032, v16
	v_add_f32_e32 v25, v29, v25
	v_add_f32_e32 v26, v30, v26
	v_fma_f32 v29, v17, s8, -v28
	v_fmac_f32_e32 v28, 0x3f62ad3f, v17
	v_mul_f32_e32 v30, 0xbf52af12, v16
	v_mul_f32_e32 v16, 0xbf29c268, v16
	v_sub_f32_e32 v14, v14, v18
	v_add_f32_e32 v27, v31, v27
	v_add_f32_e32 v28, v40, v28
	v_fma_f32 v31, v17, s3, -v30
	v_fmac_f32_e32 v30, 0x3f116cb1, v17
	v_fma_f32 v40, v17, s14, -v16
	v_fmac_f32_e32 v16, 0xbf3f9e67, v17
	v_add_f32_e32 v15, v15, v19
	v_mul_f32_e32 v17, 0xbf6f5d39, v14
	v_fma_f32 v18, v15, s9, -v17
	v_fmac_f32_e32 v17, 0xbeb58ec6, v15
	v_mul_f32_e32 v19, 0x3f29c268, v14
	v_add_f32_e32 v16, v21, v16
	v_add_f32_e32 v17, v22, v17
	v_fma_f32 v21, v15, s14, -v19
	v_fmac_f32_e32 v19, 0xbf3f9e67, v15
	v_mul_f32_e32 v22, 0x3eedf032, v14
	v_add_f32_e32 v18, v23, v18
	v_add_f32_e32 v19, v24, v19
	v_fma_f32 v23, v15, s8, -v22
	v_fmac_f32_e32 v22, 0x3f62ad3f, v15
	v_mul_f32_e32 v24, 0xbf7e222b, v14
	v_sub_f32_e32 v10, v10, v12
	v_add_f32_e32 v21, v25, v21
	v_add_f32_e32 v22, v26, v22
	v_fma_f32 v25, v15, s2, -v24
	v_fmac_f32_e32 v24, 0x3df6dbef, v15
	v_mul_f32_e32 v26, 0x3e750f2a, v14
	v_mul_f32_e32 v14, 0x3f52af12, v14
	v_add_f32_e32 v11, v11, v13
	v_mul_f32_e32 v12, 0xbf29c268, v10
	v_add_f32_e32 v23, v27, v23
	v_add_f32_e32 v24, v28, v24
	v_fma_f32 v27, v15, s15, -v26
	v_fmac_f32_e32 v26, 0xbf788fa5, v15
	v_fma_f32 v28, v15, s3, -v14
	v_fmac_f32_e32 v14, 0x3f116cb1, v15
	;; [unrolled: 2-line block ×3, first 2 shown]
	v_mul_f32_e32 v15, 0x3f7e222b, v10
	v_add_f32_e32 v14, v16, v14
	v_add_f32_e32 v12, v17, v12
	v_fma_f32 v16, v11, s2, -v15
	v_fmac_f32_e32 v15, 0x3df6dbef, v11
	v_mul_f32_e32 v17, 0xbf52af12, v10
	v_add_f32_e32 v13, v18, v13
	v_add_f32_e32 v15, v19, v15
	v_fma_f32 v18, v11, s3, -v17
	v_fmac_f32_e32 v17, 0x3f116cb1, v11
	v_mul_f32_e32 v19, 0x3e750f2a, v10
	v_sub_f32_e32 v6, v6, v8
	v_add_f32_e32 v16, v21, v16
	v_add_f32_e32 v17, v22, v17
	v_fma_f32 v21, v11, s15, -v19
	v_fmac_f32_e32 v19, 0xbf788fa5, v11
	v_mul_f32_e32 v22, 0x3eedf032, v10
	v_mul_f32_e32 v10, 0xbf6f5d39, v10
	v_add_f32_e32 v7, v7, v9
	v_mul_f32_e32 v8, 0xbe750f2a, v6
	v_add_f32_e32 v18, v23, v18
	v_add_f32_e32 v19, v24, v19
	v_fma_f32 v23, v11, s8, -v22
	v_fmac_f32_e32 v22, 0x3f62ad3f, v11
	v_fma_f32 v24, v11, s9, -v10
	v_fmac_f32_e32 v10, 0xbeb58ec6, v11
	;; [unrolled: 2-line block ×3, first 2 shown]
	v_mul_f32_e32 v11, 0x3eedf032, v6
	v_add_f32_e32 v41, v45, v41
	v_add_f32_e32 v43, v47, v43
	v_add_f32_e32 v42, v46, v42
	v_add_f32_e32 v44, v48, v44
	v_add_f32_e32 v9, v13, v9
	v_add_f32_e32 v8, v12, v8
	v_fma_f32 v12, v7, s8, -v11
	v_fmac_f32_e32 v11, 0x3f62ad3f, v7
	v_mul_f32_e32 v13, 0xbf29c268, v6
	v_add_f32_e32 v29, v41, v29
	v_add_f32_e32 v31, v43, v31
	v_add_f32_e32 v30, v42, v30
	v_add_f32_e32 v40, v44, v40
	v_add_f32_e32 v10, v14, v10
	v_add_f32_e32 v11, v15, v11
	v_fma_f32 v14, v7, s14, -v13
	v_fmac_f32_e32 v13, 0xbf3f9e67, v7
	;; [unrolled: 9-line block ×3, first 2 shown]
	v_mul_f32_e32 v17, 0xbf6f5d39, v6
	v_mul_f32_e32 v6, 0x3f7e222b, v6
	v_add_f32_e32 v21, v25, v21
	v_add_f32_e32 v23, v27, v23
	;; [unrolled: 1-line block ×6, first 2 shown]
	v_fma_f32 v18, v7, s9, -v17
	v_fmac_f32_e32 v17, 0xbeb58ec6, v7
	v_fma_f32 v19, v7, s2, -v6
	v_fmac_f32_e32 v6, 0x3df6dbef, v7
	v_mad_u32_u24 v7, v5, 48, v0
	v_add_f32_e32 v16, v21, v16
	v_add_f32_e32 v18, v23, v18
	;; [unrolled: 1-line block ×5, first 2 shown]
	ds_write2_b32 v7, v39, v9 offset1:1
	ds_write2_b32 v7, v12, v14 offset0:2 offset1:3
	ds_write2_b32 v7, v16, v18 offset0:4 offset1:5
	;; [unrolled: 1-line block ×5, first 2 shown]
	ds_write_b32 v7, v8 offset:48
.LBB0_15:
	s_or_b64 exec, exec, s[6:7]
	s_load_dwordx2 s[2:3], s[4:5], 0x0
	v_add_u32_e32 v13, 0x75, v5
	s_movk_i32 s4, 0x4f
	v_mul_lo_u16_sdwa v6, v5, s4 dst_sel:DWORD dst_unused:UNUSED_PAD src0_sel:BYTE_0 src1_sel:DWORD
	v_mul_lo_u16_sdwa v7, v13, s4 dst_sel:DWORD dst_unused:UNUSED_PAD src0_sel:BYTE_0 src1_sel:DWORD
	v_lshrrev_b16_e32 v12, 10, v6
	v_lshrrev_b16_e32 v24, 10, v7
	v_mul_lo_u16_e32 v6, 13, v12
	v_mul_lo_u16_e32 v11, 13, v24
	v_sub_u16_e32 v23, v5, v6
	v_mov_b32_e32 v10, 4
	v_sub_u16_e32 v25, v13, v11
	v_lshlrev_b32_sdwa v6, v10, v23 dst_sel:DWORD dst_unused:UNUSED_PAD src0_sel:DWORD src1_sel:BYTE_0
	v_lshlrev_b32_sdwa v10, v10, v25 dst_sel:DWORD dst_unused:UNUSED_PAD src0_sel:DWORD src1_sel:BYTE_0
	s_waitcnt lgkmcnt(0)
	s_barrier
	global_load_dwordx4 v[6:9], v6, s[12:13]
	v_mov_b32_e32 v31, 2
	global_load_dwordx4 v[14:17], v10, s[12:13]
	ds_read2_b32 v[10:11], v0 offset1:117
	ds_read2_b32 v[18:19], v20 offset0:106 offset1:223
	ds_read2_b32 v[21:22], v38 offset0:84 offset1:201
	v_mul_u32_u24_e32 v12, 0x9c, v12
	v_mul_u32_u24_e32 v24, 0x9c, v24
	v_lshlrev_b32_sdwa v23, v31, v23 dst_sel:DWORD dst_unused:UNUSED_PAD src0_sel:DWORD src1_sel:BYTE_0
	v_lshlrev_b32_sdwa v25, v31, v25 dst_sel:DWORD dst_unused:UNUSED_PAD src0_sel:DWORD src1_sel:BYTE_0
	v_add3_u32 v12, 0, v12, v23
	v_add3_u32 v25, 0, v24, v25
	s_movk_i32 s4, 0xa5
	s_waitcnt vmcnt(0) lgkmcnt(0)
	s_barrier
	v_mul_f32_e32 v23, v18, v7
	v_mul_f32_e32 v7, v34, v7
	;; [unrolled: 1-line block ×8, first 2 shown]
	v_fmac_f32_e32 v23, v34, v6
	v_fma_f32 v6, v18, v6, -v7
	v_fma_f32 v7, v21, v8, -v9
	v_fmac_f32_e32 v26, v35, v14
	v_fmac_f32_e32 v27, v37, v16
	;; [unrolled: 1-line block ×3, first 2 shown]
	v_fma_f32 v8, v19, v14, -v15
	v_fma_f32 v9, v22, v16, -v17
	v_sub_f32_e32 v16, v6, v7
	v_add_f32_e32 v17, v10, v6
	v_add_f32_e32 v6, v6, v7
	;; [unrolled: 1-line block ×5, first 2 shown]
	v_sub_f32_e32 v18, v23, v24
	v_add_f32_e32 v19, v33, v26
	v_sub_f32_e32 v22, v8, v9
	v_add_f32_e32 v23, v11, v8
	v_add_f32_e32 v8, v8, v9
	v_fma_f32 v6, -0.5, v6, v10
	v_fmac_f32_e32 v33, -0.5, v21
	v_fma_f32 v15, -0.5, v15, v32
	v_add_f32_e32 v7, v17, v7
	v_add_f32_e32 v10, v19, v27
	v_fmac_f32_e32 v11, -0.5, v8
	v_mov_b32_e32 v17, v6
	v_mov_b32_e32 v19, v33
	v_sub_f32_e32 v26, v26, v27
	v_mov_b32_e32 v8, v15
	v_fmac_f32_e32 v15, 0x3f5db3d7, v16
	v_fmac_f32_e32 v6, 0xbf5db3d7, v18
	v_mov_b32_e32 v27, v11
	v_fmac_f32_e32 v17, 0x3f5db3d7, v18
	v_fmac_f32_e32 v19, 0xbf5db3d7, v22
	v_add_f32_e32 v14, v14, v24
	v_add_f32_e32 v9, v23, v9
	v_fmac_f32_e32 v33, 0x3f5db3d7, v22
	v_fmac_f32_e32 v11, 0xbf5db3d7, v26
	;; [unrolled: 1-line block ×4, first 2 shown]
	ds_write_b32 v12, v15 offset:104
	ds_write2_b32 v12, v14, v8 offset1:13
	ds_write2_b32 v25, v10, v19 offset1:13
	ds_write_b32 v25, v33 offset:104
	s_waitcnt lgkmcnt(0)
	s_barrier
	ds_read2_b32 v[18:19], v0 offset1:117
	ds_read2_b32 v[21:22], v20 offset0:106 offset1:223
	ds_read2_b32 v[23:24], v38 offset0:84 offset1:201
	s_waitcnt lgkmcnt(0)
	s_barrier
	ds_write2_b32 v12, v7, v17 offset1:13
	ds_write_b32 v12, v6 offset:104
	ds_write2_b32 v25, v9, v27 offset1:13
	ds_write_b32 v25, v11 offset:104
	v_mul_lo_u16_sdwa v6, v5, s4 dst_sel:DWORD dst_unused:UNUSED_PAD src0_sel:BYTE_0 src1_sel:DWORD
	v_sub_u16_sdwa v7, v5, v6 dst_sel:DWORD dst_unused:UNUSED_PAD src0_sel:DWORD src1_sel:BYTE_1
	v_lshrrev_b16_e32 v7, 1, v7
	v_and_b32_e32 v7, 0x7f, v7
	v_add_u16_sdwa v6, v7, v6 dst_sel:DWORD dst_unused:UNUSED_PAD src0_sel:DWORD src1_sel:BYTE_1
	v_lshrrev_b16_e32 v6, 5, v6
	v_and_b32_e32 v12, 7, v6
	v_mul_lo_u16_e32 v6, 39, v12
	v_sub_u16_e32 v32, v5, v6
	v_mov_b32_e32 v6, 5
	v_mul_u32_u24_sdwa v6, v32, v6 dst_sel:DWORD dst_unused:UNUSED_PAD src0_sel:BYTE_0 src1_sel:DWORD
	v_lshlrev_b32_e32 v25, 3, v6
	s_waitcnt lgkmcnt(0)
	s_barrier
	global_load_dwordx4 v[6:9], v25, s[12:13] offset:208
	global_load_dwordx4 v[14:17], v25, s[12:13] offset:224
	global_load_dwordx2 v[10:11], v25, s[12:13] offset:240
	ds_read2_b32 v[25:26], v0 offset1:117
	ds_read2_b32 v[27:28], v20 offset0:106 offset1:223
	ds_read2_b32 v[29:30], v38 offset0:84 offset1:201
	s_movk_i32 s4, 0x3a8
	s_waitcnt vmcnt(0) lgkmcnt(0)
	s_barrier
	v_mul_f32_e32 v33, v26, v7
	v_mul_f32_e32 v7, v19, v7
	;; [unrolled: 1-line block ×10, first 2 shown]
	v_fmac_f32_e32 v33, v19, v6
	v_fma_f32 v6, v26, v6, -v7
	v_fmac_f32_e32 v34, v21, v8
	v_fma_f32 v7, v27, v8, -v9
	v_fma_f32 v8, v28, v14, -v15
	v_fmac_f32_e32 v36, v23, v16
	v_fmac_f32_e32 v37, v24, v10
	v_fma_f32 v10, v30, v10, -v11
	v_fmac_f32_e32 v35, v22, v14
	v_fma_f32 v9, v29, v16, -v17
	v_add_f32_e32 v14, v34, v36
	v_sub_f32_e32 v22, v8, v10
	v_add_f32_e32 v23, v6, v8
	v_add_f32_e32 v8, v8, v10
	;; [unrolled: 1-line block ×3, first 2 shown]
	v_sub_f32_e32 v15, v7, v9
	v_add_f32_e32 v16, v25, v7
	v_add_f32_e32 v7, v7, v9
	;; [unrolled: 1-line block ×4, first 2 shown]
	v_sub_f32_e32 v24, v35, v37
	v_fmac_f32_e32 v18, -0.5, v14
	v_fmac_f32_e32 v6, -0.5, v8
	;; [unrolled: 1-line block ×3, first 2 shown]
	v_add_f32_e32 v7, v19, v37
	v_fmac_f32_e32 v33, -0.5, v21
	v_mov_b32_e32 v8, v18
	v_mov_b32_e32 v19, v6
	v_fmac_f32_e32 v6, 0xbf5db3d7, v24
	v_sub_f32_e32 v17, v34, v36
	v_add_f32_e32 v9, v16, v9
	v_fmac_f32_e32 v18, 0x3f5db3d7, v15
	v_mov_b32_e32 v14, v25
	v_mov_b32_e32 v16, v33
	v_fmac_f32_e32 v33, 0x3f5db3d7, v22
	v_fmac_f32_e32 v8, 0xbf5db3d7, v15
	;; [unrolled: 1-line block ×3, first 2 shown]
	v_mul_f32_e32 v15, 0xbf5db3d7, v6
	v_add_f32_e32 v11, v11, v36
	v_add_f32_e32 v10, v23, v10
	v_fmac_f32_e32 v25, 0xbf5db3d7, v17
	v_fmac_f32_e32 v14, 0x3f5db3d7, v17
	;; [unrolled: 1-line block ×3, first 2 shown]
	v_mul_f32_e32 v17, 0xbf5db3d7, v19
	v_fmac_f32_e32 v15, -0.5, v33
	v_add_f32_e32 v21, v11, v7
	v_add_f32_e32 v23, v9, v10
	v_mul_f32_e32 v19, 0.5, v19
	v_fmac_f32_e32 v17, 0.5, v16
	v_add_f32_e32 v22, v18, v15
	v_sub_f32_e32 v7, v11, v7
	v_sub_f32_e32 v11, v18, v15
	;; [unrolled: 1-line block ×3, first 2 shown]
	v_mul_u32_u24_sdwa v9, v12, s4 dst_sel:DWORD dst_unused:UNUSED_PAD src0_sel:WORD_0 src1_sel:DWORD
	v_lshlrev_b32_sdwa v10, v31, v32 dst_sel:DWORD dst_unused:UNUSED_PAD src0_sel:DWORD src1_sel:BYTE_0
	v_fmac_f32_e32 v19, 0x3f5db3d7, v16
	v_add_f32_e32 v16, v8, v17
	v_sub_f32_e32 v8, v8, v17
	v_add3_u32 v17, 0, v9, v10
	ds_write2_b32 v17, v21, v16 offset1:39
	ds_write2_b32 v17, v22, v7 offset0:78 offset1:117
	ds_write2_b32 v17, v8, v11 offset0:156 offset1:195
	s_waitcnt lgkmcnt(0)
	s_barrier
	ds_read2_b32 v[7:8], v0 offset1:117
	ds_read2_b32 v[9:10], v20 offset0:106 offset1:223
	ds_read2_b32 v[11:12], v38 offset0:84 offset1:201
	v_mul_f32_e32 v6, -0.5, v6
	v_add_f32_e32 v24, v14, v19
	v_fmac_f32_e32 v6, 0x3f5db3d7, v33
	v_add_f32_e32 v26, v25, v6
	v_sub_f32_e32 v14, v14, v19
	v_sub_f32_e32 v6, v25, v6
	s_waitcnt lgkmcnt(0)
	s_barrier
	ds_write2_b32 v17, v23, v24 offset1:39
	ds_write2_b32 v17, v26, v15 offset0:78 offset1:117
	ds_write2_b32 v17, v14, v6 offset0:156 offset1:195
	s_waitcnt lgkmcnt(0)
	s_barrier
	s_and_saveexec_b64 s[4:5], s[0:1]
	s_cbranch_execz .LBB0_17
; %bb.16:
	v_lshlrev_b32_e32 v21, 1, v13
	v_mov_b32_e32 v22, 0
	v_lshlrev_b64 v[14:15], 3, v[21:22]
	v_lshlrev_b32_e32 v21, 1, v5
	v_mov_b32_e32 v6, s13
	v_add_co_u32_e32 v14, vcc, s12, v14
	v_lshlrev_b64 v[18:19], 3, v[21:22]
	v_addc_co_u32_e32 v15, vcc, v6, v15, vcc
	v_add_co_u32_e32 v18, vcc, s12, v18
	global_load_dwordx4 v[14:17], v[14:15], off offset:1768
	v_addc_co_u32_e32 v19, vcc, v6, v19, vcc
	global_load_dwordx4 v[18:21], v[18:19], off offset:1768
	v_mul_lo_u32 v29, s3, v3
	v_mul_lo_u32 v30, s2, v4
	v_mad_u64_u32 v[3:4], s[0:1], s2, v3, 0
	ds_read2_b32 v[23:24], v0 offset1:117
	v_add_u32_e32 v6, 0x200, v0
	v_add3_u32 v4, v4, v30, v29
	v_add_u32_e32 v27, 0x600, v0
	v_lshlrev_b64 v[0:1], 3, v[1:2]
	v_lshlrev_b64 v[2:3], 3, v[3:4]
	v_mov_b32_e32 v31, s11
	ds_read2_b32 v[25:26], v6 offset0:106 offset1:223
	ds_read2_b32 v[27:28], v27 offset0:84 offset1:201
	v_add_co_u32_e32 v2, vcc, s10, v2
	v_mov_b32_e32 v6, v22
	v_addc_co_u32_e32 v3, vcc, v31, v3, vcc
	v_lshlrev_b64 v[5:6], 3, v[5:6]
	v_add_co_u32_e32 v0, vcc, v2, v0
	v_addc_co_u32_e32 v1, vcc, v3, v1, vcc
	v_add_co_u32_e32 v0, vcc, v0, v5
	v_addc_co_u32_e32 v1, vcc, v1, v6, vcc
	s_mov_b32 s0, 0x8c08c08d
	s_waitcnt vmcnt(1)
	v_mul_f32_e32 v2, v10, v15
	v_mul_f32_e32 v3, v12, v17
	s_waitcnt lgkmcnt(1)
	v_mul_f32_e32 v4, v26, v15
	s_waitcnt lgkmcnt(0)
	v_mul_f32_e32 v6, v28, v17
	v_fma_f32 v2, v26, v14, -v2
	v_fma_f32 v5, v28, v16, -v3
	v_fmac_f32_e32 v4, v10, v14
	v_fmac_f32_e32 v6, v12, v16
	s_waitcnt vmcnt(0)
	v_mul_f32_e32 v3, v9, v19
	v_mul_f32_e32 v10, v11, v21
	;; [unrolled: 1-line block ×4, first 2 shown]
	v_sub_f32_e32 v16, v4, v6
	v_add_f32_e32 v17, v4, v6
	v_add_f32_e32 v4, v8, v4
	v_fma_f32 v25, v25, v18, -v3
	v_fma_f32 v26, v27, v20, -v10
	v_fmac_f32_e32 v12, v9, v18
	v_fmac_f32_e32 v14, v11, v20
	v_add_f32_e32 v15, v2, v5
	v_sub_f32_e32 v19, v2, v5
	v_add_f32_e32 v21, v24, v2
	v_fma_f32 v2, -0.5, v17, v8
	v_add_f32_e32 v4, v4, v6
	v_add_f32_e32 v6, v25, v26
	v_sub_f32_e32 v17, v12, v14
	v_add_f32_e32 v10, v12, v14
	v_add_f32_e32 v12, v7, v12
	v_fma_f32 v11, -0.5, v6, v23
	v_add_f32_e32 v6, v12, v14
	v_lshrrev_b32_e32 v12, 1, v13
	v_mul_hi_u32 v12, v12, s0
	v_fma_f32 v3, -0.5, v15, v24
	v_add_f32_e32 v15, v23, v25
	v_fma_f32 v10, -0.5, v10, v7
	v_sub_f32_e32 v18, v25, v26
	v_add_f32_e32 v7, v15, v26
	v_mov_b32_e32 v15, v11
	v_mov_b32_e32 v14, v10
	v_fmac_f32_e32 v11, 0x3f5db3d7, v17
	v_fmac_f32_e32 v10, 0xbf5db3d7, v18
	;; [unrolled: 1-line block ×4, first 2 shown]
	global_store_dwordx2 v[0:1], v[6:7], off
	global_store_dwordx2 v[0:1], v[10:11], off offset:1872
	global_store_dwordx2 v[0:1], v[14:15], off offset:3744
	v_lshrrev_b32_e32 v6, 6, v12
	v_add_f32_e32 v5, v21, v5
	v_mul_u32_u24_e32 v21, 0x1d4, v6
	v_lshlrev_b64 v[6:7], 3, v[21:22]
	v_mov_b32_e32 v9, v3
	v_add_co_u32_e32 v0, vcc, v0, v6
	v_addc_co_u32_e32 v1, vcc, v1, v7, vcc
	v_mov_b32_e32 v8, v2
	v_add_co_u32_e32 v6, vcc, 0x3a8, v0
	v_fmac_f32_e32 v3, 0x3f5db3d7, v16
	v_fmac_f32_e32 v2, 0xbf5db3d7, v19
	;; [unrolled: 1-line block ×4, first 2 shown]
	v_addc_co_u32_e32 v7, vcc, 0, v1, vcc
	global_store_dwordx2 v[0:1], v[4:5], off offset:936
	global_store_dwordx2 v[0:1], v[2:3], off offset:2808
	;; [unrolled: 1-line block ×3, first 2 shown]
.LBB0_17:
	s_endpgm
	.section	.rodata,"a",@progbits
	.p2align	6, 0x0
	.amdhsa_kernel fft_rtc_back_len702_factors_13_3_6_3_wgs_117_tpt_117_halfLds_sp_op_CI_CI_unitstride_sbrr_dirReg
		.amdhsa_group_segment_fixed_size 0
		.amdhsa_private_segment_fixed_size 0
		.amdhsa_kernarg_size 104
		.amdhsa_user_sgpr_count 6
		.amdhsa_user_sgpr_private_segment_buffer 1
		.amdhsa_user_sgpr_dispatch_ptr 0
		.amdhsa_user_sgpr_queue_ptr 0
		.amdhsa_user_sgpr_kernarg_segment_ptr 1
		.amdhsa_user_sgpr_dispatch_id 0
		.amdhsa_user_sgpr_flat_scratch_init 0
		.amdhsa_user_sgpr_private_segment_size 0
		.amdhsa_uses_dynamic_stack 0
		.amdhsa_system_sgpr_private_segment_wavefront_offset 0
		.amdhsa_system_sgpr_workgroup_id_x 1
		.amdhsa_system_sgpr_workgroup_id_y 0
		.amdhsa_system_sgpr_workgroup_id_z 0
		.amdhsa_system_sgpr_workgroup_info 0
		.amdhsa_system_vgpr_workitem_id 0
		.amdhsa_next_free_vgpr 59
		.amdhsa_next_free_sgpr 28
		.amdhsa_reserve_vcc 1
		.amdhsa_reserve_flat_scratch 0
		.amdhsa_float_round_mode_32 0
		.amdhsa_float_round_mode_16_64 0
		.amdhsa_float_denorm_mode_32 3
		.amdhsa_float_denorm_mode_16_64 3
		.amdhsa_dx10_clamp 1
		.amdhsa_ieee_mode 1
		.amdhsa_fp16_overflow 0
		.amdhsa_exception_fp_ieee_invalid_op 0
		.amdhsa_exception_fp_denorm_src 0
		.amdhsa_exception_fp_ieee_div_zero 0
		.amdhsa_exception_fp_ieee_overflow 0
		.amdhsa_exception_fp_ieee_underflow 0
		.amdhsa_exception_fp_ieee_inexact 0
		.amdhsa_exception_int_div_zero 0
	.end_amdhsa_kernel
	.text
.Lfunc_end0:
	.size	fft_rtc_back_len702_factors_13_3_6_3_wgs_117_tpt_117_halfLds_sp_op_CI_CI_unitstride_sbrr_dirReg, .Lfunc_end0-fft_rtc_back_len702_factors_13_3_6_3_wgs_117_tpt_117_halfLds_sp_op_CI_CI_unitstride_sbrr_dirReg
                                        ; -- End function
	.section	.AMDGPU.csdata,"",@progbits
; Kernel info:
; codeLenInByte = 6052
; NumSgprs: 32
; NumVgprs: 59
; ScratchSize: 0
; MemoryBound: 0
; FloatMode: 240
; IeeeMode: 1
; LDSByteSize: 0 bytes/workgroup (compile time only)
; SGPRBlocks: 3
; VGPRBlocks: 14
; NumSGPRsForWavesPerEU: 32
; NumVGPRsForWavesPerEU: 59
; Occupancy: 4
; WaveLimiterHint : 1
; COMPUTE_PGM_RSRC2:SCRATCH_EN: 0
; COMPUTE_PGM_RSRC2:USER_SGPR: 6
; COMPUTE_PGM_RSRC2:TRAP_HANDLER: 0
; COMPUTE_PGM_RSRC2:TGID_X_EN: 1
; COMPUTE_PGM_RSRC2:TGID_Y_EN: 0
; COMPUTE_PGM_RSRC2:TGID_Z_EN: 0
; COMPUTE_PGM_RSRC2:TIDIG_COMP_CNT: 0
	.type	__hip_cuid_7a2ee271eb80701e,@object ; @__hip_cuid_7a2ee271eb80701e
	.section	.bss,"aw",@nobits
	.globl	__hip_cuid_7a2ee271eb80701e
__hip_cuid_7a2ee271eb80701e:
	.byte	0                               ; 0x0
	.size	__hip_cuid_7a2ee271eb80701e, 1

	.ident	"AMD clang version 19.0.0git (https://github.com/RadeonOpenCompute/llvm-project roc-6.4.0 25133 c7fe45cf4b819c5991fe208aaa96edf142730f1d)"
	.section	".note.GNU-stack","",@progbits
	.addrsig
	.addrsig_sym __hip_cuid_7a2ee271eb80701e
	.amdgpu_metadata
---
amdhsa.kernels:
  - .args:
      - .actual_access:  read_only
        .address_space:  global
        .offset:         0
        .size:           8
        .value_kind:     global_buffer
      - .offset:         8
        .size:           8
        .value_kind:     by_value
      - .actual_access:  read_only
        .address_space:  global
        .offset:         16
        .size:           8
        .value_kind:     global_buffer
      - .actual_access:  read_only
        .address_space:  global
        .offset:         24
        .size:           8
        .value_kind:     global_buffer
      - .actual_access:  read_only
        .address_space:  global
        .offset:         32
        .size:           8
        .value_kind:     global_buffer
      - .offset:         40
        .size:           8
        .value_kind:     by_value
      - .actual_access:  read_only
        .address_space:  global
        .offset:         48
        .size:           8
        .value_kind:     global_buffer
      - .actual_access:  read_only
        .address_space:  global
        .offset:         56
        .size:           8
        .value_kind:     global_buffer
      - .offset:         64
        .size:           4
        .value_kind:     by_value
      - .actual_access:  read_only
        .address_space:  global
        .offset:         72
        .size:           8
        .value_kind:     global_buffer
      - .actual_access:  read_only
        .address_space:  global
        .offset:         80
        .size:           8
        .value_kind:     global_buffer
      - .actual_access:  read_only
        .address_space:  global
        .offset:         88
        .size:           8
        .value_kind:     global_buffer
      - .actual_access:  write_only
        .address_space:  global
        .offset:         96
        .size:           8
        .value_kind:     global_buffer
    .group_segment_fixed_size: 0
    .kernarg_segment_align: 8
    .kernarg_segment_size: 104
    .language:       OpenCL C
    .language_version:
      - 2
      - 0
    .max_flat_workgroup_size: 117
    .name:           fft_rtc_back_len702_factors_13_3_6_3_wgs_117_tpt_117_halfLds_sp_op_CI_CI_unitstride_sbrr_dirReg
    .private_segment_fixed_size: 0
    .sgpr_count:     32
    .sgpr_spill_count: 0
    .symbol:         fft_rtc_back_len702_factors_13_3_6_3_wgs_117_tpt_117_halfLds_sp_op_CI_CI_unitstride_sbrr_dirReg.kd
    .uniform_work_group_size: 1
    .uses_dynamic_stack: false
    .vgpr_count:     59
    .vgpr_spill_count: 0
    .wavefront_size: 64
amdhsa.target:   amdgcn-amd-amdhsa--gfx906
amdhsa.version:
  - 1
  - 2
...

	.end_amdgpu_metadata
